;; amdgpu-corpus repo=ggml-org/llama.cpp kind=compiled arch=gfx906 opt=O3
	.amdgcn_target "amdgcn-amd-amdhsa--gfx906"
	.amdhsa_code_object_version 6
	.section	.text._ZL23conv2d_transpose_kernelI6__halfEvPKfPKT_Pfiiiiiiiiii,"axG",@progbits,_ZL23conv2d_transpose_kernelI6__halfEvPKfPKT_Pfiiiiiiiiii,comdat
	.globl	_ZL23conv2d_transpose_kernelI6__halfEvPKfPKT_Pfiiiiiiiiii ; -- Begin function _ZL23conv2d_transpose_kernelI6__halfEvPKfPKT_Pfiiiiiiiiii
	.p2align	8
	.type	_ZL23conv2d_transpose_kernelI6__halfEvPKfPKT_Pfiiiiiiiiii,@function
_ZL23conv2d_transpose_kernelI6__halfEvPKfPKT_Pfiiiiiiiiii: ; @_ZL23conv2d_transpose_kernelI6__halfEvPKfPKT_Pfiiiiiiiiii
; %bb.0:
	s_load_dword s2, s[4:5], 0x4c
	s_load_dwordx8 s[8:15], s[4:5], 0x18
	s_load_dwordx2 s[0:1], s[4:5], 0x38
	s_waitcnt lgkmcnt(0)
	s_and_b32 s2, s2, 0xffff
	s_mul_i32 s26, s11, s10
	s_mul_i32 s6, s6, s2
	;; [unrolled: 1-line block ×3, first 2 shown]
	v_add_u32_e32 v0, s6, v0
	s_mul_i32 s1, s27, s1
	v_cmp_gt_i32_e32 vcc, s1, v0
	s_and_saveexec_b64 s[2:3], vcc
	s_cbranch_execz .LBB0_18
; %bb.1:
	s_abs_i32 s1, s10
	v_cvt_f32_u32_e32 v1, s1
	s_sub_i32 s7, 0, s1
	v_sub_u32_e32 v5, 0, v0
	v_max_i32_e32 v5, v0, v5
	v_rcp_iflag_f32_e32 v2, v1
	v_ashrrev_i32_e32 v1, 31, v0
	s_ashr_i32 s6, s10, 31
	s_load_dwordx2 s[2:3], s[4:5], 0x10
	v_mul_f32_e32 v2, 0x4f7ffffe, v2
	v_cvt_u32_f32_e32 v2, v2
	s_mov_b32 s28, 0
	v_mul_lo_u32 v3, s7, v2
	s_abs_i32 s7, s11
	v_cvt_f32_u32_e32 v4, s7
	s_abs_i32 s11, s26
	v_mul_hi_u32 v3, v2, v3
	v_rcp_iflag_f32_e32 v4, v4
	v_add_u32_e32 v2, v2, v3
	v_mul_hi_u32 v2, v5, v2
	v_mul_f32_e32 v3, 0x4f7ffffe, v4
	v_cvt_u32_f32_e32 v3, v3
	v_xor_b32_e32 v4, s6, v1
	v_mul_lo_u32 v6, v2, s1
	v_add_u32_e32 v8, 1, v2
	s_sub_i32 s6, 0, s7
	v_mul_lo_u32 v7, s6, v3
	v_sub_u32_e32 v6, v5, v6
	v_cmp_le_u32_e32 vcc, s1, v6
	v_cndmask_b32_e32 v2, v2, v8, vcc
	v_subrev_u32_e32 v8, s1, v6
	v_cndmask_b32_e32 v6, v6, v8, vcc
	v_cmp_le_u32_e32 vcc, s1, v6
	v_cvt_f32_u32_e32 v6, s11
	v_add_u32_e32 v8, 1, v2
	v_cndmask_b32_e32 v2, v2, v8, vcc
	v_xor_b32_e32 v2, v2, v4
	v_sub_u32_e32 v2, v2, v4
	v_mul_hi_u32 v4, v3, v7
	v_rcp_iflag_f32_e32 v6, v6
	v_sub_u32_e32 v7, 0, v2
	v_max_i32_e32 v7, v2, v7
	v_add_u32_e32 v3, v3, v4
	v_mul_f32_e32 v4, 0x4f7ffffe, v6
	v_cvt_u32_f32_e32 v4, v4
	v_mul_hi_u32 v3, v7, v3
	s_sub_i32 s1, 0, s11
	v_mul_lo_u32 v6, v2, s10
	v_mul_lo_u32 v8, s1, v4
	;; [unrolled: 1-line block ×3, first 2 shown]
	s_ashr_i32 s1, s26, 31
	v_sub_u32_e32 v0, v0, v6
	v_mul_hi_u32 v6, v4, v8
	v_sub_u32_e32 v3, v7, v3
	v_subrev_u32_e32 v7, s7, v3
	v_cmp_le_u32_e32 vcc, s7, v3
	v_cndmask_b32_e32 v3, v3, v7, vcc
	v_xor_b32_e32 v7, s1, v1
	s_abs_i32 s1, s0
	v_add_u32_e32 v4, v4, v6
	v_cvt_f32_u32_e32 v8, s1
	v_mul_hi_u32 v4, v5, v4
	v_subrev_u32_e32 v6, s7, v3
	v_cmp_le_u32_e32 vcc, s7, v3
	v_rcp_iflag_f32_e32 v8, v8
	v_cndmask_b32_e32 v3, v3, v6, vcc
	v_mul_lo_u32 v6, v4, s11
	v_add_u32_e32 v9, 1, v4
	v_mul_f32_e32 v8, 0x4f7ffffe, v8
	v_cvt_u32_f32_e32 v8, v8
	v_sub_u32_e32 v6, v5, v6
	v_cmp_le_u32_e32 vcc, s11, v6
	v_cndmask_b32_e32 v4, v4, v9, vcc
	v_subrev_u32_e32 v9, s11, v6
	v_cndmask_b32_e32 v6, v6, v9, vcc
	s_sub_i32 s6, 0, s1
	v_add_u32_e32 v9, 1, v4
	v_cmp_le_u32_e32 vcc, s11, v6
	v_mul_lo_u32 v6, s6, v8
	s_abs_i32 s6, s27
	v_cndmask_b32_e32 v4, v4, v9, vcc
	v_cvt_f32_u32_e32 v9, s6
	v_mul_hi_u32 v6, v8, v6
	v_xor_b32_e32 v4, v4, v7
	v_sub_u32_e32 v4, v4, v7
	v_rcp_iflag_f32_e32 v9, v9
	v_sub_u32_e32 v7, 0, v4
	v_max_i32_e32 v7, v4, v7
	v_add_u32_e32 v6, v8, v6
	v_mul_f32_e32 v8, 0x4f7ffffe, v9
	v_mul_hi_u32 v6, v7, v6
	v_cvt_u32_f32_e32 v8, v8
	v_ashrrev_i32_e32 v2, 31, v2
	v_xor_b32_e32 v3, v3, v2
	s_sub_i32 s7, 0, s6
	v_sub_u32_e32 v3, v3, v2
	v_mul_lo_u32 v2, v6, s1
	v_mul_lo_u32 v6, s7, v8
	v_ashrrev_i32_e32 v4, 31, v4
	v_sub_u32_e32 v2, v7, v2
	v_mul_hi_u32 v6, v8, v6
	v_subrev_u32_e32 v7, s1, v2
	v_cmp_le_u32_e32 vcc, s1, v2
	v_cndmask_b32_e32 v2, v2, v7, vcc
	v_add_u32_e32 v6, v8, v6
	v_mul_hi_u32 v6, v5, v6
	v_subrev_u32_e32 v7, s1, v2
	v_cmp_le_u32_e32 vcc, s1, v2
	v_cndmask_b32_e32 v2, v2, v7, vcc
	v_mul_lo_u32 v7, v6, s6
	v_xor_b32_e32 v2, v2, v4
	v_sub_u32_e32 v4, v2, v4
	s_ashr_i32 s1, s27, 31
	v_sub_u32_e32 v2, v5, v7
	v_add_u32_e32 v5, 1, v6
	v_cmp_le_u32_e32 vcc, s6, v2
	v_cndmask_b32_e32 v5, v6, v5, vcc
	v_subrev_u32_e32 v6, s6, v2
	v_cndmask_b32_e32 v2, v2, v6, vcc
	v_add_u32_e32 v6, 1, v5
	v_cmp_le_u32_e32 vcc, s6, v2
	v_xor_b32_e32 v1, s1, v1
	v_cndmask_b32_e32 v2, v5, v6, vcc
	v_xor_b32_e32 v2, v2, v1
	s_cmp_lt_i32 s15, 1
	v_sub_u32_e32 v5, v2, v1
	s_cbranch_scc1 .LBB0_16
; %bb.2:
	s_cmp_gt_i32 s13, 0
	s_cselect_b64 s[16:17], -1, 0
	s_cmp_lt_i32 s12, 1
	s_cselect_b64 s[18:19], -1, 0
	s_abs_i32 s11, s14
	v_cvt_f32_u32_e32 v1, s11
	s_sub_i32 s1, 0, s11
	s_load_dwordx4 s[4:7], s[4:5], 0x0
	s_mul_i32 s29, s13, s12
	v_rcp_iflag_f32_e32 v1, v1
	v_mul_lo_u32 v7, v5, s15
	v_mul_lo_u32 v8, s29, v4
	v_mov_b32_e32 v6, 0
	v_mul_f32_e32 v1, 0x4f7ffffe, v1
	v_cvt_u32_f32_e32 v1, v1
	s_mul_i32 s29, s29, s0
	s_ashr_i32 s30, s14, 31
	s_xor_b64 s[18:19], s[18:19], -1
	v_mul_lo_u32 v2, s1, v1
	v_mul_hi_u32 v2, v1, v2
	v_add_u32_e32 v9, v1, v2
	s_branch .LBB0_4
.LBB0_3:                                ;   in Loop: Header=BB0_4 Depth=1
	s_add_i32 s28, s28, 1
	s_cmp_eq_u32 s28, s15
	v_add_u32_e32 v8, s29, v8
	s_cbranch_scc1 .LBB0_17
.LBB0_4:                                ; =>This Loop Header: Depth=1
                                        ;     Child Loop BB0_8 Depth 2
                                        ;       Child Loop BB0_13 Depth 3
	s_andn2_b64 vcc, exec, s[16:17]
	s_cbranch_vccnz .LBB0_3
; %bb.5:                                ;   in Loop: Header=BB0_4 Depth=1
	v_add_u32_e32 v1, s28, v7
	v_mul_lo_u32 v10, v1, s9
	s_mov_b32 s31, 0
	v_mov_b32_e32 v11, v8
	s_branch .LBB0_8
.LBB0_6:                                ;   in Loop: Header=BB0_8 Depth=2
	s_or_b64 exec, exec, s[22:23]
.LBB0_7:                                ;   in Loop: Header=BB0_8 Depth=2
	s_or_b64 exec, exec, s[20:21]
	s_add_i32 s31, s31, 1
	s_cmp_eq_u32 s31, s13
	v_add_u32_e32 v11, s12, v11
	s_cbranch_scc1 .LBB0_3
.LBB0_8:                                ;   Parent Loop BB0_4 Depth=1
                                        ; =>  This Loop Header: Depth=2
                                        ;       Child Loop BB0_13 Depth 3
	v_subrev_u32_e32 v1, s31, v3
	v_cmp_lt_i32_e32 vcc, -1, v1
	s_and_saveexec_b64 s[20:21], vcc
	s_cbranch_execz .LBB0_7
; %bb.9:                                ;   in Loop: Header=BB0_8 Depth=2
	v_sub_u32_e32 v2, 0, v1
	v_max_i32_e32 v2, v1, v2
	v_mul_hi_u32 v12, v2, v9
	v_ashrrev_i32_e32 v14, 31, v1
	v_xor_b32_e32 v14, s30, v14
	v_mul_lo_u32 v13, v12, s11
	v_add_u32_e32 v15, 1, v12
	v_sub_u32_e32 v2, v2, v13
	v_cmp_le_u32_e32 vcc, s11, v2
	v_subrev_u32_e32 v13, s11, v2
	v_cndmask_b32_e32 v12, v12, v15, vcc
	v_cndmask_b32_e32 v2, v2, v13, vcc
	v_add_u32_e32 v13, 1, v12
	v_cmp_le_u32_e32 vcc, s11, v2
	v_cndmask_b32_e32 v2, v12, v13, vcc
	v_xor_b32_e32 v2, v2, v14
	v_sub_u32_e32 v2, v2, v14
	v_mul_lo_u32 v12, v2, s14
	v_cmp_gt_i32_e32 vcc, s9, v2
	s_and_b64 s[22:23], vcc, s[18:19]
	v_sub_u32_e32 v1, v1, v12
	v_cmp_eq_u32_e64 s[0:1], 0, v1
	s_and_b64 s[0:1], s[0:1], s[22:23]
	s_and_saveexec_b64 s[22:23], s[0:1]
	s_cbranch_execz .LBB0_6
; %bb.10:                               ;   in Loop: Header=BB0_8 Depth=2
	v_add_u32_e32 v1, v2, v10
	v_mul_lo_u32 v12, v1, s8
	v_mov_b32_e32 v1, v11
	v_mov_b32_e32 v13, v0
	s_mov_b32 s33, s12
	s_branch .LBB0_13
.LBB0_11:                               ;   in Loop: Header=BB0_13 Depth=3
	s_or_b64 exec, exec, s[0:1]
.LBB0_12:                               ;   in Loop: Header=BB0_13 Depth=3
	s_or_b64 exec, exec, s[24:25]
	s_add_i32 s33, s33, -1
	v_add_u32_e32 v13, -1, v13
	s_cmp_lg_u32 s33, 0
	v_add_u32_e32 v1, 1, v1
	s_cbranch_scc0 .LBB0_6
.LBB0_13:                               ;   Parent Loop BB0_4 Depth=1
                                        ;     Parent Loop BB0_8 Depth=2
                                        ; =>    This Inner Loop Header: Depth=3
	v_cmp_lt_i32_e32 vcc, -1, v13
	s_and_saveexec_b64 s[24:25], vcc
	s_cbranch_execz .LBB0_12
; %bb.14:                               ;   in Loop: Header=BB0_13 Depth=3
	v_sub_u32_e32 v2, 0, v13
	v_max_i32_e32 v2, v13, v2
	v_mul_hi_u32 v14, v2, v9
	v_ashrrev_i32_e32 v16, 31, v13
	v_xor_b32_e32 v16, s30, v16
	v_mul_lo_u32 v15, v14, s11
	v_add_u32_e32 v17, 1, v14
	v_sub_u32_e32 v2, v2, v15
	v_cmp_le_u32_e32 vcc, s11, v2
	v_subrev_u32_e32 v15, s11, v2
	v_cndmask_b32_e32 v14, v14, v17, vcc
	v_cndmask_b32_e32 v2, v2, v15, vcc
	v_add_u32_e32 v15, 1, v14
	v_cmp_le_u32_e32 vcc, s11, v2
	v_cndmask_b32_e32 v2, v14, v15, vcc
	v_xor_b32_e32 v2, v2, v16
	v_sub_u32_e32 v2, v2, v16
	v_mul_lo_u32 v14, v2, s14
	v_cmp_gt_i32_e64 s[0:1], s8, v2
	v_sub_u32_e32 v14, v13, v14
	v_cmp_eq_u32_e32 vcc, 0, v14
	s_and_b64 s[34:35], vcc, s[0:1]
	s_and_saveexec_b64 s[0:1], s[34:35]
	s_cbranch_execz .LBB0_11
; %bb.15:                               ;   in Loop: Header=BB0_13 Depth=3
	v_add_u32_e32 v14, v12, v2
	v_ashrrev_i32_e32 v15, 31, v14
	v_lshlrev_b64 v[14:15], 2, v[14:15]
	s_waitcnt lgkmcnt(0)
	v_mov_b32_e32 v2, s5
	v_add_co_u32_e32 v14, vcc, s4, v14
	v_addc_co_u32_e32 v15, vcc, v2, v15, vcc
	v_ashrrev_i32_e32 v2, 31, v1
	global_load_dword v16, v[14:15], off
	v_lshlrev_b64 v[14:15], 1, v[1:2]
	v_mov_b32_e32 v2, s7
	v_add_co_u32_e32 v14, vcc, s6, v14
	v_addc_co_u32_e32 v15, vcc, v2, v15, vcc
	global_load_ushort v2, v[14:15], off
	s_waitcnt vmcnt(0)
	v_fma_mix_f32 v6, v16, v2, v6 op_sel_hi:[0,1,0]
	s_branch .LBB0_11
.LBB0_16:
	v_mov_b32_e32 v6, 0
.LBB0_17:
	v_mul_lo_u32 v2, v5, s27
	v_mul_lo_u32 v4, v4, s26
	v_mad_u64_u32 v[0:1], s[0:1], v3, s10, v[0:1]
	v_add3_u32 v0, v0, v4, v2
	v_ashrrev_i32_e32 v1, 31, v0
	v_lshlrev_b64 v[0:1], 2, v[0:1]
	s_waitcnt lgkmcnt(0)
	v_mov_b32_e32 v2, s3
	v_add_co_u32_e32 v0, vcc, s2, v0
	v_addc_co_u32_e32 v1, vcc, v2, v1, vcc
	global_store_dword v[0:1], v6, off
.LBB0_18:
	s_endpgm
	.section	.rodata,"a",@progbits
	.p2align	6, 0x0
	.amdhsa_kernel _ZL23conv2d_transpose_kernelI6__halfEvPKfPKT_Pfiiiiiiiiii
		.amdhsa_group_segment_fixed_size 0
		.amdhsa_private_segment_fixed_size 0
		.amdhsa_kernarg_size 320
		.amdhsa_user_sgpr_count 6
		.amdhsa_user_sgpr_private_segment_buffer 1
		.amdhsa_user_sgpr_dispatch_ptr 0
		.amdhsa_user_sgpr_queue_ptr 0
		.amdhsa_user_sgpr_kernarg_segment_ptr 1
		.amdhsa_user_sgpr_dispatch_id 0
		.amdhsa_user_sgpr_flat_scratch_init 0
		.amdhsa_user_sgpr_private_segment_size 0
		.amdhsa_uses_dynamic_stack 0
		.amdhsa_system_sgpr_private_segment_wavefront_offset 0
		.amdhsa_system_sgpr_workgroup_id_x 1
		.amdhsa_system_sgpr_workgroup_id_y 0
		.amdhsa_system_sgpr_workgroup_id_z 0
		.amdhsa_system_sgpr_workgroup_info 0
		.amdhsa_system_vgpr_workitem_id 0
		.amdhsa_next_free_vgpr 18
		.amdhsa_next_free_sgpr 36
		.amdhsa_reserve_vcc 1
		.amdhsa_reserve_flat_scratch 0
		.amdhsa_float_round_mode_32 0
		.amdhsa_float_round_mode_16_64 0
		.amdhsa_float_denorm_mode_32 3
		.amdhsa_float_denorm_mode_16_64 3
		.amdhsa_dx10_clamp 1
		.amdhsa_ieee_mode 1
		.amdhsa_fp16_overflow 0
		.amdhsa_exception_fp_ieee_invalid_op 0
		.amdhsa_exception_fp_denorm_src 0
		.amdhsa_exception_fp_ieee_div_zero 0
		.amdhsa_exception_fp_ieee_overflow 0
		.amdhsa_exception_fp_ieee_underflow 0
		.amdhsa_exception_fp_ieee_inexact 0
		.amdhsa_exception_int_div_zero 0
	.end_amdhsa_kernel
	.section	.text._ZL23conv2d_transpose_kernelI6__halfEvPKfPKT_Pfiiiiiiiiii,"axG",@progbits,_ZL23conv2d_transpose_kernelI6__halfEvPKfPKT_Pfiiiiiiiiii,comdat
.Lfunc_end0:
	.size	_ZL23conv2d_transpose_kernelI6__halfEvPKfPKT_Pfiiiiiiiiii, .Lfunc_end0-_ZL23conv2d_transpose_kernelI6__halfEvPKfPKT_Pfiiiiiiiiii
                                        ; -- End function
	.set _ZL23conv2d_transpose_kernelI6__halfEvPKfPKT_Pfiiiiiiiiii.num_vgpr, 18
	.set _ZL23conv2d_transpose_kernelI6__halfEvPKfPKT_Pfiiiiiiiiii.num_agpr, 0
	.set _ZL23conv2d_transpose_kernelI6__halfEvPKfPKT_Pfiiiiiiiiii.numbered_sgpr, 36
	.set _ZL23conv2d_transpose_kernelI6__halfEvPKfPKT_Pfiiiiiiiiii.num_named_barrier, 0
	.set _ZL23conv2d_transpose_kernelI6__halfEvPKfPKT_Pfiiiiiiiiii.private_seg_size, 0
	.set _ZL23conv2d_transpose_kernelI6__halfEvPKfPKT_Pfiiiiiiiiii.uses_vcc, 1
	.set _ZL23conv2d_transpose_kernelI6__halfEvPKfPKT_Pfiiiiiiiiii.uses_flat_scratch, 0
	.set _ZL23conv2d_transpose_kernelI6__halfEvPKfPKT_Pfiiiiiiiiii.has_dyn_sized_stack, 0
	.set _ZL23conv2d_transpose_kernelI6__halfEvPKfPKT_Pfiiiiiiiiii.has_recursion, 0
	.set _ZL23conv2d_transpose_kernelI6__halfEvPKfPKT_Pfiiiiiiiiii.has_indirect_call, 0
	.section	.AMDGPU.csdata,"",@progbits
; Kernel info:
; codeLenInByte = 1344
; TotalNumSgprs: 40
; NumVgprs: 18
; ScratchSize: 0
; MemoryBound: 0
; FloatMode: 240
; IeeeMode: 1
; LDSByteSize: 0 bytes/workgroup (compile time only)
; SGPRBlocks: 4
; VGPRBlocks: 4
; NumSGPRsForWavesPerEU: 40
; NumVGPRsForWavesPerEU: 18
; Occupancy: 10
; WaveLimiterHint : 0
; COMPUTE_PGM_RSRC2:SCRATCH_EN: 0
; COMPUTE_PGM_RSRC2:USER_SGPR: 6
; COMPUTE_PGM_RSRC2:TRAP_HANDLER: 0
; COMPUTE_PGM_RSRC2:TGID_X_EN: 1
; COMPUTE_PGM_RSRC2:TGID_Y_EN: 0
; COMPUTE_PGM_RSRC2:TGID_Z_EN: 0
; COMPUTE_PGM_RSRC2:TIDIG_COMP_CNT: 0
	.section	.text._ZL23conv2d_transpose_kernelIfEvPKfPKT_Pfiiiiiiiiii,"axG",@progbits,_ZL23conv2d_transpose_kernelIfEvPKfPKT_Pfiiiiiiiiii,comdat
	.globl	_ZL23conv2d_transpose_kernelIfEvPKfPKT_Pfiiiiiiiiii ; -- Begin function _ZL23conv2d_transpose_kernelIfEvPKfPKT_Pfiiiiiiiiii
	.p2align	8
	.type	_ZL23conv2d_transpose_kernelIfEvPKfPKT_Pfiiiiiiiiii,@function
_ZL23conv2d_transpose_kernelIfEvPKfPKT_Pfiiiiiiiiii: ; @_ZL23conv2d_transpose_kernelIfEvPKfPKT_Pfiiiiiiiiii
; %bb.0:
	s_load_dword s2, s[4:5], 0x4c
	s_load_dwordx8 s[8:15], s[4:5], 0x18
	s_load_dwordx2 s[0:1], s[4:5], 0x38
	s_waitcnt lgkmcnt(0)
	s_and_b32 s2, s2, 0xffff
	s_mul_i32 s26, s11, s10
	s_mul_i32 s6, s6, s2
	;; [unrolled: 1-line block ×3, first 2 shown]
	v_add_u32_e32 v0, s6, v0
	s_mul_i32 s1, s27, s1
	v_cmp_gt_i32_e32 vcc, s1, v0
	s_and_saveexec_b64 s[2:3], vcc
	s_cbranch_execz .LBB1_18
; %bb.1:
	s_abs_i32 s1, s10
	v_cvt_f32_u32_e32 v1, s1
	s_sub_i32 s7, 0, s1
	v_sub_u32_e32 v5, 0, v0
	v_max_i32_e32 v5, v0, v5
	v_rcp_iflag_f32_e32 v2, v1
	v_ashrrev_i32_e32 v1, 31, v0
	s_ashr_i32 s6, s10, 31
	s_load_dwordx2 s[2:3], s[4:5], 0x10
	v_mul_f32_e32 v2, 0x4f7ffffe, v2
	v_cvt_u32_f32_e32 v2, v2
	s_mov_b32 s28, 0
	v_mul_lo_u32 v3, s7, v2
	s_abs_i32 s7, s11
	v_cvt_f32_u32_e32 v4, s7
	s_abs_i32 s11, s26
	v_mul_hi_u32 v3, v2, v3
	v_rcp_iflag_f32_e32 v4, v4
	v_add_u32_e32 v2, v2, v3
	v_mul_hi_u32 v2, v5, v2
	v_mul_f32_e32 v3, 0x4f7ffffe, v4
	v_cvt_u32_f32_e32 v3, v3
	v_xor_b32_e32 v4, s6, v1
	v_mul_lo_u32 v6, v2, s1
	v_add_u32_e32 v8, 1, v2
	s_sub_i32 s6, 0, s7
	v_mul_lo_u32 v7, s6, v3
	v_sub_u32_e32 v6, v5, v6
	v_cmp_le_u32_e32 vcc, s1, v6
	v_cndmask_b32_e32 v2, v2, v8, vcc
	v_subrev_u32_e32 v8, s1, v6
	v_cndmask_b32_e32 v6, v6, v8, vcc
	v_cmp_le_u32_e32 vcc, s1, v6
	v_cvt_f32_u32_e32 v6, s11
	v_add_u32_e32 v8, 1, v2
	v_cndmask_b32_e32 v2, v2, v8, vcc
	v_xor_b32_e32 v2, v2, v4
	v_sub_u32_e32 v2, v2, v4
	v_mul_hi_u32 v4, v3, v7
	v_rcp_iflag_f32_e32 v6, v6
	v_sub_u32_e32 v7, 0, v2
	v_max_i32_e32 v7, v2, v7
	v_add_u32_e32 v3, v3, v4
	v_mul_f32_e32 v4, 0x4f7ffffe, v6
	v_cvt_u32_f32_e32 v4, v4
	v_mul_hi_u32 v3, v7, v3
	s_sub_i32 s1, 0, s11
	v_mul_lo_u32 v6, v2, s10
	v_mul_lo_u32 v8, s1, v4
	;; [unrolled: 1-line block ×3, first 2 shown]
	s_ashr_i32 s1, s26, 31
	v_sub_u32_e32 v0, v0, v6
	v_mul_hi_u32 v6, v4, v8
	v_sub_u32_e32 v3, v7, v3
	v_subrev_u32_e32 v7, s7, v3
	v_cmp_le_u32_e32 vcc, s7, v3
	v_cndmask_b32_e32 v3, v3, v7, vcc
	v_xor_b32_e32 v7, s1, v1
	s_abs_i32 s1, s0
	v_add_u32_e32 v4, v4, v6
	v_cvt_f32_u32_e32 v8, s1
	v_mul_hi_u32 v4, v5, v4
	v_subrev_u32_e32 v6, s7, v3
	v_cmp_le_u32_e32 vcc, s7, v3
	v_rcp_iflag_f32_e32 v8, v8
	v_cndmask_b32_e32 v3, v3, v6, vcc
	v_mul_lo_u32 v6, v4, s11
	v_add_u32_e32 v9, 1, v4
	v_mul_f32_e32 v8, 0x4f7ffffe, v8
	v_cvt_u32_f32_e32 v8, v8
	v_sub_u32_e32 v6, v5, v6
	v_cmp_le_u32_e32 vcc, s11, v6
	v_cndmask_b32_e32 v4, v4, v9, vcc
	v_subrev_u32_e32 v9, s11, v6
	v_cndmask_b32_e32 v6, v6, v9, vcc
	s_sub_i32 s6, 0, s1
	v_add_u32_e32 v9, 1, v4
	v_cmp_le_u32_e32 vcc, s11, v6
	v_mul_lo_u32 v6, s6, v8
	s_abs_i32 s6, s27
	v_cndmask_b32_e32 v4, v4, v9, vcc
	v_cvt_f32_u32_e32 v9, s6
	v_mul_hi_u32 v6, v8, v6
	v_xor_b32_e32 v4, v4, v7
	v_sub_u32_e32 v4, v4, v7
	v_rcp_iflag_f32_e32 v9, v9
	v_sub_u32_e32 v7, 0, v4
	v_max_i32_e32 v7, v4, v7
	v_add_u32_e32 v6, v8, v6
	v_mul_f32_e32 v8, 0x4f7ffffe, v9
	v_mul_hi_u32 v6, v7, v6
	v_cvt_u32_f32_e32 v8, v8
	v_ashrrev_i32_e32 v2, 31, v2
	v_xor_b32_e32 v3, v3, v2
	s_sub_i32 s7, 0, s6
	v_sub_u32_e32 v3, v3, v2
	v_mul_lo_u32 v2, v6, s1
	v_mul_lo_u32 v6, s7, v8
	v_ashrrev_i32_e32 v4, 31, v4
	v_sub_u32_e32 v2, v7, v2
	v_mul_hi_u32 v6, v8, v6
	v_subrev_u32_e32 v7, s1, v2
	v_cmp_le_u32_e32 vcc, s1, v2
	v_cndmask_b32_e32 v2, v2, v7, vcc
	v_add_u32_e32 v6, v8, v6
	v_mul_hi_u32 v6, v5, v6
	v_subrev_u32_e32 v7, s1, v2
	v_cmp_le_u32_e32 vcc, s1, v2
	v_cndmask_b32_e32 v2, v2, v7, vcc
	v_mul_lo_u32 v7, v6, s6
	v_xor_b32_e32 v2, v2, v4
	v_sub_u32_e32 v4, v2, v4
	s_ashr_i32 s1, s27, 31
	v_sub_u32_e32 v2, v5, v7
	v_add_u32_e32 v5, 1, v6
	v_cmp_le_u32_e32 vcc, s6, v2
	v_cndmask_b32_e32 v5, v6, v5, vcc
	v_subrev_u32_e32 v6, s6, v2
	v_cndmask_b32_e32 v2, v2, v6, vcc
	v_add_u32_e32 v6, 1, v5
	v_cmp_le_u32_e32 vcc, s6, v2
	v_xor_b32_e32 v1, s1, v1
	v_cndmask_b32_e32 v2, v5, v6, vcc
	v_xor_b32_e32 v2, v2, v1
	s_cmp_lt_i32 s15, 1
	v_sub_u32_e32 v5, v2, v1
	s_cbranch_scc1 .LBB1_16
; %bb.2:
	s_cmp_gt_i32 s13, 0
	s_cselect_b64 s[16:17], -1, 0
	s_cmp_lt_i32 s12, 1
	s_cselect_b64 s[18:19], -1, 0
	s_abs_i32 s11, s14
	v_cvt_f32_u32_e32 v1, s11
	s_sub_i32 s1, 0, s11
	s_load_dwordx4 s[4:7], s[4:5], 0x0
	s_mul_i32 s29, s13, s12
	v_rcp_iflag_f32_e32 v1, v1
	v_mul_lo_u32 v7, v5, s15
	v_mul_lo_u32 v8, s29, v4
	v_mov_b32_e32 v6, 0
	v_mul_f32_e32 v1, 0x4f7ffffe, v1
	v_cvt_u32_f32_e32 v1, v1
	s_mul_i32 s29, s29, s0
	s_ashr_i32 s30, s14, 31
	s_xor_b64 s[18:19], s[18:19], -1
	v_mul_lo_u32 v2, s1, v1
	v_mul_hi_u32 v2, v1, v2
	v_add_u32_e32 v9, v1, v2
	s_branch .LBB1_4
.LBB1_3:                                ;   in Loop: Header=BB1_4 Depth=1
	s_add_i32 s28, s28, 1
	s_cmp_eq_u32 s28, s15
	v_add_u32_e32 v8, s29, v8
	s_cbranch_scc1 .LBB1_17
.LBB1_4:                                ; =>This Loop Header: Depth=1
                                        ;     Child Loop BB1_8 Depth 2
                                        ;       Child Loop BB1_13 Depth 3
	s_andn2_b64 vcc, exec, s[16:17]
	s_cbranch_vccnz .LBB1_3
; %bb.5:                                ;   in Loop: Header=BB1_4 Depth=1
	v_add_u32_e32 v1, s28, v7
	v_mul_lo_u32 v10, v1, s9
	s_mov_b32 s31, 0
	v_mov_b32_e32 v11, v8
	s_branch .LBB1_8
.LBB1_6:                                ;   in Loop: Header=BB1_8 Depth=2
	s_or_b64 exec, exec, s[22:23]
.LBB1_7:                                ;   in Loop: Header=BB1_8 Depth=2
	s_or_b64 exec, exec, s[20:21]
	s_add_i32 s31, s31, 1
	s_cmp_eq_u32 s31, s13
	v_add_u32_e32 v11, s12, v11
	s_cbranch_scc1 .LBB1_3
.LBB1_8:                                ;   Parent Loop BB1_4 Depth=1
                                        ; =>  This Loop Header: Depth=2
                                        ;       Child Loop BB1_13 Depth 3
	v_subrev_u32_e32 v1, s31, v3
	v_cmp_lt_i32_e32 vcc, -1, v1
	s_and_saveexec_b64 s[20:21], vcc
	s_cbranch_execz .LBB1_7
; %bb.9:                                ;   in Loop: Header=BB1_8 Depth=2
	v_sub_u32_e32 v2, 0, v1
	v_max_i32_e32 v2, v1, v2
	v_mul_hi_u32 v12, v2, v9
	v_ashrrev_i32_e32 v14, 31, v1
	v_xor_b32_e32 v14, s30, v14
	v_mul_lo_u32 v13, v12, s11
	v_add_u32_e32 v15, 1, v12
	v_sub_u32_e32 v2, v2, v13
	v_cmp_le_u32_e32 vcc, s11, v2
	v_subrev_u32_e32 v13, s11, v2
	v_cndmask_b32_e32 v12, v12, v15, vcc
	v_cndmask_b32_e32 v2, v2, v13, vcc
	v_add_u32_e32 v13, 1, v12
	v_cmp_le_u32_e32 vcc, s11, v2
	v_cndmask_b32_e32 v2, v12, v13, vcc
	v_xor_b32_e32 v2, v2, v14
	v_sub_u32_e32 v2, v2, v14
	v_mul_lo_u32 v12, v2, s14
	v_cmp_gt_i32_e32 vcc, s9, v2
	s_and_b64 s[22:23], vcc, s[18:19]
	v_sub_u32_e32 v1, v1, v12
	v_cmp_eq_u32_e64 s[0:1], 0, v1
	s_and_b64 s[0:1], s[0:1], s[22:23]
	s_and_saveexec_b64 s[22:23], s[0:1]
	s_cbranch_execz .LBB1_6
; %bb.10:                               ;   in Loop: Header=BB1_8 Depth=2
	v_add_u32_e32 v1, v2, v10
	v_mul_lo_u32 v12, v1, s8
	v_mov_b32_e32 v1, v11
	v_mov_b32_e32 v13, v0
	s_mov_b32 s33, s12
	s_branch .LBB1_13
.LBB1_11:                               ;   in Loop: Header=BB1_13 Depth=3
	s_or_b64 exec, exec, s[0:1]
.LBB1_12:                               ;   in Loop: Header=BB1_13 Depth=3
	s_or_b64 exec, exec, s[24:25]
	s_add_i32 s33, s33, -1
	v_add_u32_e32 v13, -1, v13
	s_cmp_lg_u32 s33, 0
	v_add_u32_e32 v1, 1, v1
	s_cbranch_scc0 .LBB1_6
.LBB1_13:                               ;   Parent Loop BB1_4 Depth=1
                                        ;     Parent Loop BB1_8 Depth=2
                                        ; =>    This Inner Loop Header: Depth=3
	v_cmp_lt_i32_e32 vcc, -1, v13
	s_and_saveexec_b64 s[24:25], vcc
	s_cbranch_execz .LBB1_12
; %bb.14:                               ;   in Loop: Header=BB1_13 Depth=3
	v_sub_u32_e32 v2, 0, v13
	v_max_i32_e32 v2, v13, v2
	v_mul_hi_u32 v14, v2, v9
	v_ashrrev_i32_e32 v16, 31, v13
	v_xor_b32_e32 v16, s30, v16
	v_mul_lo_u32 v15, v14, s11
	v_add_u32_e32 v17, 1, v14
	v_sub_u32_e32 v2, v2, v15
	v_cmp_le_u32_e32 vcc, s11, v2
	v_subrev_u32_e32 v15, s11, v2
	v_cndmask_b32_e32 v14, v14, v17, vcc
	v_cndmask_b32_e32 v2, v2, v15, vcc
	v_add_u32_e32 v15, 1, v14
	v_cmp_le_u32_e32 vcc, s11, v2
	v_cndmask_b32_e32 v2, v14, v15, vcc
	v_xor_b32_e32 v2, v2, v16
	v_sub_u32_e32 v2, v2, v16
	v_mul_lo_u32 v14, v2, s14
	v_cmp_gt_i32_e64 s[0:1], s8, v2
	v_sub_u32_e32 v14, v13, v14
	v_cmp_eq_u32_e32 vcc, 0, v14
	s_and_b64 s[34:35], vcc, s[0:1]
	s_and_saveexec_b64 s[0:1], s[34:35]
	s_cbranch_execz .LBB1_11
; %bb.15:                               ;   in Loop: Header=BB1_13 Depth=3
	v_add_u32_e32 v14, v12, v2
	v_ashrrev_i32_e32 v15, 31, v14
	v_lshlrev_b64 v[14:15], 2, v[14:15]
	s_waitcnt lgkmcnt(0)
	v_mov_b32_e32 v2, s5
	v_add_co_u32_e32 v14, vcc, s4, v14
	v_addc_co_u32_e32 v15, vcc, v2, v15, vcc
	v_ashrrev_i32_e32 v2, 31, v1
	global_load_dword v16, v[14:15], off
	v_lshlrev_b64 v[14:15], 2, v[1:2]
	v_mov_b32_e32 v2, s7
	v_add_co_u32_e32 v14, vcc, s6, v14
	v_addc_co_u32_e32 v15, vcc, v2, v15, vcc
	global_load_dword v2, v[14:15], off
	s_waitcnt vmcnt(0)
	v_fmac_f32_e32 v6, v16, v2
	s_branch .LBB1_11
.LBB1_16:
	v_mov_b32_e32 v6, 0
.LBB1_17:
	v_mul_lo_u32 v2, v5, s27
	v_mul_lo_u32 v4, v4, s26
	v_mad_u64_u32 v[0:1], s[0:1], v3, s10, v[0:1]
	v_add3_u32 v0, v0, v4, v2
	v_ashrrev_i32_e32 v1, 31, v0
	v_lshlrev_b64 v[0:1], 2, v[0:1]
	s_waitcnt lgkmcnt(0)
	v_mov_b32_e32 v2, s3
	v_add_co_u32_e32 v0, vcc, s2, v0
	v_addc_co_u32_e32 v1, vcc, v2, v1, vcc
	global_store_dword v[0:1], v6, off
.LBB1_18:
	s_endpgm
	.section	.rodata,"a",@progbits
	.p2align	6, 0x0
	.amdhsa_kernel _ZL23conv2d_transpose_kernelIfEvPKfPKT_Pfiiiiiiiiii
		.amdhsa_group_segment_fixed_size 0
		.amdhsa_private_segment_fixed_size 0
		.amdhsa_kernarg_size 320
		.amdhsa_user_sgpr_count 6
		.amdhsa_user_sgpr_private_segment_buffer 1
		.amdhsa_user_sgpr_dispatch_ptr 0
		.amdhsa_user_sgpr_queue_ptr 0
		.amdhsa_user_sgpr_kernarg_segment_ptr 1
		.amdhsa_user_sgpr_dispatch_id 0
		.amdhsa_user_sgpr_flat_scratch_init 0
		.amdhsa_user_sgpr_private_segment_size 0
		.amdhsa_uses_dynamic_stack 0
		.amdhsa_system_sgpr_private_segment_wavefront_offset 0
		.amdhsa_system_sgpr_workgroup_id_x 1
		.amdhsa_system_sgpr_workgroup_id_y 0
		.amdhsa_system_sgpr_workgroup_id_z 0
		.amdhsa_system_sgpr_workgroup_info 0
		.amdhsa_system_vgpr_workitem_id 0
		.amdhsa_next_free_vgpr 18
		.amdhsa_next_free_sgpr 36
		.amdhsa_reserve_vcc 1
		.amdhsa_reserve_flat_scratch 0
		.amdhsa_float_round_mode_32 0
		.amdhsa_float_round_mode_16_64 0
		.amdhsa_float_denorm_mode_32 3
		.amdhsa_float_denorm_mode_16_64 3
		.amdhsa_dx10_clamp 1
		.amdhsa_ieee_mode 1
		.amdhsa_fp16_overflow 0
		.amdhsa_exception_fp_ieee_invalid_op 0
		.amdhsa_exception_fp_denorm_src 0
		.amdhsa_exception_fp_ieee_div_zero 0
		.amdhsa_exception_fp_ieee_overflow 0
		.amdhsa_exception_fp_ieee_underflow 0
		.amdhsa_exception_fp_ieee_inexact 0
		.amdhsa_exception_int_div_zero 0
	.end_amdhsa_kernel
	.section	.text._ZL23conv2d_transpose_kernelIfEvPKfPKT_Pfiiiiiiiiii,"axG",@progbits,_ZL23conv2d_transpose_kernelIfEvPKfPKT_Pfiiiiiiiiii,comdat
.Lfunc_end1:
	.size	_ZL23conv2d_transpose_kernelIfEvPKfPKT_Pfiiiiiiiiii, .Lfunc_end1-_ZL23conv2d_transpose_kernelIfEvPKfPKT_Pfiiiiiiiiii
                                        ; -- End function
	.set _ZL23conv2d_transpose_kernelIfEvPKfPKT_Pfiiiiiiiiii.num_vgpr, 18
	.set _ZL23conv2d_transpose_kernelIfEvPKfPKT_Pfiiiiiiiiii.num_agpr, 0
	.set _ZL23conv2d_transpose_kernelIfEvPKfPKT_Pfiiiiiiiiii.numbered_sgpr, 36
	.set _ZL23conv2d_transpose_kernelIfEvPKfPKT_Pfiiiiiiiiii.num_named_barrier, 0
	.set _ZL23conv2d_transpose_kernelIfEvPKfPKT_Pfiiiiiiiiii.private_seg_size, 0
	.set _ZL23conv2d_transpose_kernelIfEvPKfPKT_Pfiiiiiiiiii.uses_vcc, 1
	.set _ZL23conv2d_transpose_kernelIfEvPKfPKT_Pfiiiiiiiiii.uses_flat_scratch, 0
	.set _ZL23conv2d_transpose_kernelIfEvPKfPKT_Pfiiiiiiiiii.has_dyn_sized_stack, 0
	.set _ZL23conv2d_transpose_kernelIfEvPKfPKT_Pfiiiiiiiiii.has_recursion, 0
	.set _ZL23conv2d_transpose_kernelIfEvPKfPKT_Pfiiiiiiiiii.has_indirect_call, 0
	.section	.AMDGPU.csdata,"",@progbits
; Kernel info:
; codeLenInByte = 1340
; TotalNumSgprs: 40
; NumVgprs: 18
; ScratchSize: 0
; MemoryBound: 0
; FloatMode: 240
; IeeeMode: 1
; LDSByteSize: 0 bytes/workgroup (compile time only)
; SGPRBlocks: 4
; VGPRBlocks: 4
; NumSGPRsForWavesPerEU: 40
; NumVGPRsForWavesPerEU: 18
; Occupancy: 10
; WaveLimiterHint : 0
; COMPUTE_PGM_RSRC2:SCRATCH_EN: 0
; COMPUTE_PGM_RSRC2:USER_SGPR: 6
; COMPUTE_PGM_RSRC2:TRAP_HANDLER: 0
; COMPUTE_PGM_RSRC2:TGID_X_EN: 1
; COMPUTE_PGM_RSRC2:TGID_Y_EN: 0
; COMPUTE_PGM_RSRC2:TGID_Z_EN: 0
; COMPUTE_PGM_RSRC2:TIDIG_COMP_CNT: 0
	.section	.AMDGPU.gpr_maximums,"",@progbits
	.set amdgpu.max_num_vgpr, 0
	.set amdgpu.max_num_agpr, 0
	.set amdgpu.max_num_sgpr, 0
	.section	.AMDGPU.csdata,"",@progbits
	.type	__hip_cuid_de1fc839aabaaa68,@object ; @__hip_cuid_de1fc839aabaaa68
	.section	.bss,"aw",@nobits
	.globl	__hip_cuid_de1fc839aabaaa68
__hip_cuid_de1fc839aabaaa68:
	.byte	0                               ; 0x0
	.size	__hip_cuid_de1fc839aabaaa68, 1

	.ident	"AMD clang version 22.0.0git (https://github.com/RadeonOpenCompute/llvm-project roc-7.2.4 26084 f58b06dce1f9c15707c5f808fd002e18c2accf7e)"
	.section	".note.GNU-stack","",@progbits
	.addrsig
	.addrsig_sym __hip_cuid_de1fc839aabaaa68
	.amdgpu_metadata
---
amdhsa.kernels:
  - .args:
      - .actual_access:  read_only
        .address_space:  global
        .offset:         0
        .size:           8
        .value_kind:     global_buffer
      - .actual_access:  read_only
        .address_space:  global
        .offset:         8
        .size:           8
        .value_kind:     global_buffer
      - .actual_access:  write_only
        .address_space:  global
        .offset:         16
        .size:           8
        .value_kind:     global_buffer
      - .offset:         24
        .size:           4
        .value_kind:     by_value
      - .offset:         28
        .size:           4
        .value_kind:     by_value
      - .offset:         32
        .size:           4
        .value_kind:     by_value
      - .offset:         36
        .size:           4
        .value_kind:     by_value
      - .offset:         40
        .size:           4
        .value_kind:     by_value
      - .offset:         44
        .size:           4
        .value_kind:     by_value
      - .offset:         48
        .size:           4
        .value_kind:     by_value
      - .offset:         52
        .size:           4
        .value_kind:     by_value
      - .offset:         56
        .size:           4
        .value_kind:     by_value
      - .offset:         60
        .size:           4
        .value_kind:     by_value
      - .offset:         64
        .size:           4
        .value_kind:     hidden_block_count_x
      - .offset:         68
        .size:           4
        .value_kind:     hidden_block_count_y
      - .offset:         72
        .size:           4
        .value_kind:     hidden_block_count_z
      - .offset:         76
        .size:           2
        .value_kind:     hidden_group_size_x
      - .offset:         78
        .size:           2
        .value_kind:     hidden_group_size_y
      - .offset:         80
        .size:           2
        .value_kind:     hidden_group_size_z
      - .offset:         82
        .size:           2
        .value_kind:     hidden_remainder_x
      - .offset:         84
        .size:           2
        .value_kind:     hidden_remainder_y
      - .offset:         86
        .size:           2
        .value_kind:     hidden_remainder_z
      - .offset:         104
        .size:           8
        .value_kind:     hidden_global_offset_x
      - .offset:         112
        .size:           8
        .value_kind:     hidden_global_offset_y
      - .offset:         120
        .size:           8
        .value_kind:     hidden_global_offset_z
      - .offset:         128
        .size:           2
        .value_kind:     hidden_grid_dims
    .group_segment_fixed_size: 0
    .kernarg_segment_align: 8
    .kernarg_segment_size: 320
    .language:       OpenCL C
    .language_version:
      - 2
      - 0
    .max_flat_workgroup_size: 1024
    .name:           _ZL23conv2d_transpose_kernelI6__halfEvPKfPKT_Pfiiiiiiiiii
    .private_segment_fixed_size: 0
    .sgpr_count:     40
    .sgpr_spill_count: 0
    .symbol:         _ZL23conv2d_transpose_kernelI6__halfEvPKfPKT_Pfiiiiiiiiii.kd
    .uniform_work_group_size: 1
    .uses_dynamic_stack: false
    .vgpr_count:     18
    .vgpr_spill_count: 0
    .wavefront_size: 64
  - .args:
      - .actual_access:  read_only
        .address_space:  global
        .offset:         0
        .size:           8
        .value_kind:     global_buffer
      - .actual_access:  read_only
        .address_space:  global
        .offset:         8
        .size:           8
        .value_kind:     global_buffer
      - .actual_access:  write_only
        .address_space:  global
        .offset:         16
        .size:           8
        .value_kind:     global_buffer
      - .offset:         24
        .size:           4
        .value_kind:     by_value
      - .offset:         28
        .size:           4
        .value_kind:     by_value
      - .offset:         32
        .size:           4
        .value_kind:     by_value
      - .offset:         36
        .size:           4
        .value_kind:     by_value
      - .offset:         40
        .size:           4
        .value_kind:     by_value
      - .offset:         44
        .size:           4
        .value_kind:     by_value
      - .offset:         48
        .size:           4
        .value_kind:     by_value
      - .offset:         52
        .size:           4
        .value_kind:     by_value
      - .offset:         56
        .size:           4
        .value_kind:     by_value
      - .offset:         60
        .size:           4
        .value_kind:     by_value
      - .offset:         64
        .size:           4
        .value_kind:     hidden_block_count_x
      - .offset:         68
        .size:           4
        .value_kind:     hidden_block_count_y
      - .offset:         72
        .size:           4
        .value_kind:     hidden_block_count_z
      - .offset:         76
        .size:           2
        .value_kind:     hidden_group_size_x
      - .offset:         78
        .size:           2
        .value_kind:     hidden_group_size_y
      - .offset:         80
        .size:           2
        .value_kind:     hidden_group_size_z
      - .offset:         82
        .size:           2
        .value_kind:     hidden_remainder_x
      - .offset:         84
        .size:           2
        .value_kind:     hidden_remainder_y
      - .offset:         86
        .size:           2
        .value_kind:     hidden_remainder_z
      - .offset:         104
        .size:           8
        .value_kind:     hidden_global_offset_x
      - .offset:         112
        .size:           8
        .value_kind:     hidden_global_offset_y
      - .offset:         120
        .size:           8
        .value_kind:     hidden_global_offset_z
      - .offset:         128
        .size:           2
        .value_kind:     hidden_grid_dims
    .group_segment_fixed_size: 0
    .kernarg_segment_align: 8
    .kernarg_segment_size: 320
    .language:       OpenCL C
    .language_version:
      - 2
      - 0
    .max_flat_workgroup_size: 1024
    .name:           _ZL23conv2d_transpose_kernelIfEvPKfPKT_Pfiiiiiiiiii
    .private_segment_fixed_size: 0
    .sgpr_count:     40
    .sgpr_spill_count: 0
    .symbol:         _ZL23conv2d_transpose_kernelIfEvPKfPKT_Pfiiiiiiiiii.kd
    .uniform_work_group_size: 1
    .uses_dynamic_stack: false
    .vgpr_count:     18
    .vgpr_spill_count: 0
    .wavefront_size: 64
amdhsa.target:   amdgcn-amd-amdhsa--gfx906
amdhsa.version:
  - 1
  - 2
...

	.end_amdgpu_metadata
